;; amdgpu-corpus repo=ROCm/rocFFT kind=compiled arch=gfx950 opt=O3
	.text
	.amdgcn_target "amdgcn-amd-amdhsa--gfx950"
	.amdhsa_code_object_version 6
	.protected	bluestein_single_back_len27_dim1_sp_op_CI_CI ; -- Begin function bluestein_single_back_len27_dim1_sp_op_CI_CI
	.globl	bluestein_single_back_len27_dim1_sp_op_CI_CI
	.p2align	8
	.type	bluestein_single_back_len27_dim1_sp_op_CI_CI,@function
bluestein_single_back_len27_dim1_sp_op_CI_CI: ; @bluestein_single_back_len27_dim1_sp_op_CI_CI
; %bb.0:
	s_load_dwordx4 s[16:19], s[0:1], 0x28
	v_mul_u32_u24_e32 v1, 0x1c72, v0
	v_lshrrev_b32_e32 v2, 16, v1
	v_mad_u64_u32 v[14:15], s[2:3], s2, 28, v[2:3]
	v_mov_b32_e32 v15, 0
	s_waitcnt lgkmcnt(0)
	v_cmp_gt_u64_e32 vcc, s[16:17], v[14:15]
	s_and_saveexec_b64 s[2:3], vcc
	s_cbranch_execz .LBB0_2
; %bb.1:
	s_load_dwordx4 s[4:7], s[0:1], 0x18
	s_load_dwordx4 s[8:11], s[0:1], 0x0
	v_mul_lo_u16_e32 v1, 9, v2
	v_sub_u16_e32 v36, v0, v1
	v_mov_b32_e32 v4, s18
	s_waitcnt lgkmcnt(0)
	s_load_dwordx4 s[12:15], s[4:5], 0x0
	v_mov_b32_e32 v5, s19
	v_mov_b32_e32 v15, 0x48
	v_lshlrev_b32_e32 v30, 3, v36
	global_load_dwordx2 v[8:9], v30, s[8:9]
	s_waitcnt lgkmcnt(0)
	v_mad_u64_u32 v[0:1], s[2:3], s14, v14, 0
	v_mov_b32_e32 v2, v1
	v_mad_u64_u32 v[2:3], s[2:3], s15, v14, v[2:3]
	v_mov_b32_e32 v1, v2
	v_mad_u64_u32 v[2:3], s[2:3], s12, v36, 0
	v_mov_b32_e32 v6, v3
	v_mad_u64_u32 v[6:7], s[2:3], s13, v36, v[6:7]
	v_mov_b32_e32 v3, v6
	v_lshl_add_u64 v[0:1], v[0:1], 3, v[4:5]
	v_lshl_add_u64 v[0:1], v[2:3], 3, v[0:1]
	global_load_dwordx2 v[2:3], v[0:1], off
	v_mad_u64_u32 v[0:1], s[2:3], s12, v15, v[0:1]
	s_mul_i32 s4, s13, 0x48
	v_add_u32_e32 v1, s4, v1
	global_load_dwordx2 v[4:5], v[0:1], off
	global_load_dwordx2 v[10:11], v30, s[8:9] offset:72
	v_mad_u64_u32 v[0:1], s[2:3], s12, v15, v[0:1]
	v_add_u32_e32 v1, s4, v1
	global_load_dwordx2 v[12:13], v30, s[8:9] offset:144
	global_load_dwordx2 v[6:7], v[0:1], off
	v_lshrrev_b32_e32 v0, 2, v14
	s_mov_b32 s3, 0x24924925
	s_movk_i32 s4, 0xab
	v_mul_hi_u32 v0, v0, s3
	v_mul_lo_u16_sdwa v16, v36, s4 dst_sel:DWORD dst_unused:UNUSED_PAD src0_sel:BYTE_0 src1_sel:DWORD
	v_mul_lo_u32 v0, v0, 28
	v_lshrrev_b16_e32 v18, 9, v16
	v_sub_u32_e32 v0, v14, v0
	v_mul_lo_u16_e32 v16, 3, v18
	v_mul_u32_u24_e32 v0, 27, v0
	v_sub_u16_e32 v20, v36, v16
	v_lshlrev_b32_e32 v19, 3, v0
	v_lshlrev_b16_e32 v0, 1, v20
	v_mul_lo_u16_e32 v1, 3, v36
	v_and_b32_e32 v0, 0xfe, v0
	v_lshl_add_u32 v39, v1, 3, v19
	v_lshlrev_b32_e32 v21, 3, v0
	v_add_u32_e32 v38, v30, v19
	s_load_dwordx4 s[4:7], s[6:7], 0x0
	s_mov_b32 s2, 0x3f5db3d7
	s_waitcnt vmcnt(4)
	v_mul_f32_e32 v0, v3, v9
	v_mul_f32_e32 v1, v2, v9
	v_fmac_f32_e32 v0, v2, v8
	v_fma_f32 v1, v3, v8, -v1
	s_waitcnt vmcnt(2)
	v_mul_f32_e32 v2, v5, v11
	v_mul_f32_e32 v3, v4, v11
	v_fmac_f32_e32 v2, v4, v10
	v_fma_f32 v3, v5, v10, -v3
	ds_write2_b64 v38, v[0:1], v[2:3] offset1:9
	s_waitcnt vmcnt(0)
	v_mul_f32_e32 v0, v7, v13
	v_mul_f32_e32 v1, v6, v13
	v_fmac_f32_e32 v0, v6, v12
	v_fma_f32 v1, v7, v12, -v1
	ds_write_b64 v38, v[0:1] offset:144
	s_waitcnt lgkmcnt(0)
	s_barrier
	ds_read2_b64 v[0:3], v38 offset1:9
	ds_read_b64 v[4:5], v38 offset:144
	s_waitcnt lgkmcnt(0)
	s_barrier
	v_pk_add_f32 v[6:7], v[0:1], v[2:3]
	v_pk_add_f32 v[16:17], v[2:3], v[4:5]
	v_pk_add_f32 v[2:3], v[2:3], v[4:5] neg_lo:[0,1] neg_hi:[0,1]
	v_pk_fma_f32 v[0:1], v[16:17], 0.5, v[0:1] op_sel_hi:[1,0,1] neg_lo:[1,0,0] neg_hi:[1,0,0]
	v_pk_mul_f32 v[2:3], v[2:3], s[2:3] op_sel_hi:[1,0]
	v_pk_add_f32 v[4:5], v[6:7], v[4:5]
	v_pk_add_f32 v[6:7], v[0:1], v[2:3] op_sel:[0,1] op_sel_hi:[1,0]
	v_pk_add_f32 v[0:1], v[0:1], v[2:3] op_sel:[0,1] op_sel_hi:[1,0] neg_lo:[0,1] neg_hi:[0,1]
	v_mov_b32_e32 v2, v6
	v_mov_b32_e32 v3, v1
	;; [unrolled: 1-line block ×3, first 2 shown]
	ds_write2_b64 v39, v[4:5], v[2:3] offset1:1
	ds_write_b64 v39, v[0:1] offset:16
	s_waitcnt lgkmcnt(0)
	s_barrier
	global_load_dwordx4 v[0:3], v21, s[10:11]
	v_mad_legacy_u16 v4, v18, 9, v20
	v_and_b32_e32 v4, 0xff, v4
	v_lshl_add_u32 v40, v4, 3, v19
	ds_read2_b64 v[4:7], v38 offset1:9
	ds_read_b64 v[18:19], v38 offset:144
	v_lshlrev_b32_e32 v17, 4, v36
	s_waitcnt lgkmcnt(0)
	s_barrier
	s_waitcnt vmcnt(0)
	v_pk_mul_f32 v[20:21], v[6:7], v[0:1] op_sel:[0,1]
	v_mov_b32_e32 v16, v3
	v_pk_fma_f32 v[22:23], v[6:7], v[0:1], v[20:21] op_sel:[0,0,1] op_sel_hi:[1,1,0] neg_lo:[0,0,1] neg_hi:[0,0,1]
	v_pk_fma_f32 v[6:7], v[6:7], v[0:1], v[20:21] op_sel:[0,0,1] op_sel_hi:[1,0,0]
	v_pk_mul_f32 v[20:21], v[18:19], v[16:17] op_sel_hi:[1,0]
	v_mov_b32_e32 v23, v7
	v_pk_fma_f32 v[6:7], v[18:19], v[2:3], v[20:21] op_sel:[0,0,1] op_sel_hi:[1,1,0] neg_lo:[0,0,1] neg_hi:[0,0,1]
	v_pk_fma_f32 v[18:19], v[18:19], v[2:3], v[20:21] op_sel:[0,0,1] op_sel_hi:[1,0,0]
	s_nop 0
	v_mov_b32_e32 v7, v19
	v_pk_add_f32 v[18:19], v[4:5], v[22:23]
	v_pk_add_f32 v[20:21], v[22:23], v[6:7]
	v_pk_add_f32 v[22:23], v[22:23], v[6:7] neg_lo:[0,1] neg_hi:[0,1]
	v_pk_add_f32 v[6:7], v[18:19], v[6:7]
	v_pk_fma_f32 v[4:5], v[20:21], 0.5, v[4:5] op_sel_hi:[1,0,1] neg_lo:[1,0,0] neg_hi:[1,0,0]
	v_pk_mul_f32 v[18:19], v[22:23], s[2:3] op_sel_hi:[1,0]
	s_nop 0
	v_pk_add_f32 v[20:21], v[4:5], v[18:19] op_sel:[0,1] op_sel_hi:[1,0] neg_lo:[0,1] neg_hi:[0,1]
	v_pk_add_f32 v[4:5], v[4:5], v[18:19] op_sel:[0,1] op_sel_hi:[1,0]
	v_mov_b32_e32 v19, v21
	v_mov_b32_e32 v18, v4
	;; [unrolled: 1-line block ×3, first 2 shown]
	ds_write2_b64 v40, v[6:7], v[18:19] offset1:3
	ds_write_b64 v40, v[20:21] offset:48
	s_waitcnt lgkmcnt(0)
	s_barrier
	global_load_dwordx4 v[4:7], v17, s[10:11] offset:48
	ds_read2_b64 v[20:23], v38 offset1:9
	ds_read_b64 v[24:25], v38 offset:144
	s_add_u32 s10, s8, 0xd8
	s_addc_u32 s11, s9, 0
	s_waitcnt vmcnt(0) lgkmcnt(1)
	v_pk_mul_f32 v[26:27], v[22:23], v[4:5] op_sel:[0,1]
	v_mov_b32_e32 v18, v7
	v_pk_fma_f32 v[28:29], v[22:23], v[4:5], v[26:27] op_sel:[0,0,1] op_sel_hi:[1,1,0] neg_lo:[0,0,1] neg_hi:[0,0,1]
	v_pk_fma_f32 v[22:23], v[22:23], v[4:5], v[26:27] op_sel:[0,0,1] op_sel_hi:[1,0,0]
	s_waitcnt lgkmcnt(0)
	v_pk_mul_f32 v[26:27], v[24:25], v[18:19] op_sel_hi:[1,0]
	v_mov_b32_e32 v29, v23
	v_pk_fma_f32 v[22:23], v[24:25], v[6:7], v[26:27] op_sel:[0,0,1] op_sel_hi:[1,1,0] neg_lo:[0,0,1] neg_hi:[0,0,1]
	v_pk_fma_f32 v[24:25], v[24:25], v[6:7], v[26:27] op_sel:[0,0,1] op_sel_hi:[1,0,0]
	s_nop 0
	v_mov_b32_e32 v23, v25
	v_pk_add_f32 v[24:25], v[20:21], v[28:29]
	v_pk_add_f32 v[26:27], v[28:29], v[22:23]
	v_pk_add_f32 v[24:25], v[24:25], v[22:23]
	v_pk_add_f32 v[22:23], v[28:29], v[22:23] neg_lo:[0,1] neg_hi:[0,1]
	v_pk_fma_f32 v[20:21], v[26:27], 0.5, v[20:21] op_sel_hi:[1,0,1] neg_lo:[1,0,0] neg_hi:[1,0,0]
	v_pk_mul_f32 v[22:23], v[22:23], s[2:3] op_sel_hi:[1,0]
	s_nop 0
	v_pk_add_f32 v[26:27], v[20:21], v[22:23] op_sel:[0,1] op_sel_hi:[1,0]
	v_pk_add_f32 v[20:21], v[20:21], v[22:23] op_sel:[0,1] op_sel_hi:[1,0] neg_lo:[0,1] neg_hi:[0,1]
	v_mov_b32_e32 v22, v26
	v_mov_b32_e32 v23, v21
	;; [unrolled: 1-line block ×3, first 2 shown]
	ds_write2_b64 v38, v[24:25], v[22:23] offset1:9
	ds_write_b64 v38, v[20:21] offset:144
	s_waitcnt lgkmcnt(0)
	s_barrier
	global_load_dwordx2 v[24:25], v30, s[8:9] offset:216
	global_load_dwordx2 v[26:27], v30, s[10:11] offset:72
	;; [unrolled: 1-line block ×3, first 2 shown]
	s_load_dwordx2 s[8:9], s[0:1], 0x38
	s_mov_b32 s0, 0xbda12f68
	s_mov_b32 s1, 0x3fa2f684
	s_waitcnt lgkmcnt(0)
	v_mov_b32_e32 v30, s8
	v_mov_b32_e32 v31, s9
	v_mad_u64_u32 v[32:33], s[8:9], s6, v14, 0
	v_mad_u64_u32 v[34:35], s[8:9], s4, v36, 0
	v_mov_b32_e32 v20, v33
	v_mov_b32_e32 v22, v35
	v_mad_u64_u32 v[20:21], s[6:7], s7, v14, v[20:21]
	v_mad_u64_u32 v[36:37], s[6:7], s5, v36, v[22:23]
	v_mov_b32_e32 v33, v20
	ds_read2_b64 v[20:23], v38 offset1:9
	v_lshl_add_u64 v[30:31], v[32:33], 3, v[30:31]
	ds_read_b64 v[32:33], v38 offset:144
	v_mov_b32_e32 v35, v36
	v_lshl_add_u64 v[30:31], v[34:35], 3, v[30:31]
	s_mul_i32 s8, s5, 0x48
	s_waitcnt vmcnt(2) lgkmcnt(1)
	v_mul_f32_e32 v3, v21, v25
	v_mul_f32_e32 v35, v20, v25
	s_waitcnt vmcnt(1)
	v_mul_f32_e32 v7, v23, v27
	v_mul_f32_e32 v25, v22, v27
	s_waitcnt vmcnt(0) lgkmcnt(0)
	v_mul_f32_e32 v14, v33, v29
	v_mul_f32_e32 v27, v32, v29
	v_fma_f32 v34, v20, v24, -v3
	v_fmac_f32_e32 v35, v21, v24
	v_fma_f32 v24, v22, v26, -v7
	v_fmac_f32_e32 v25, v23, v26
	;; [unrolled: 2-line block ×3, first 2 shown]
	ds_write2_b64 v38, v[34:35], v[24:25] offset1:9
	ds_write_b64 v38, v[26:27] offset:144
	s_waitcnt lgkmcnt(0)
	s_barrier
	ds_read2_b64 v[20:23], v38 offset1:9
	ds_read_b64 v[24:25], v38 offset:144
	s_waitcnt lgkmcnt(0)
	s_barrier
	v_pk_add_f32 v[26:27], v[20:21], v[22:23]
	v_pk_add_f32 v[28:29], v[22:23], v[24:25]
	v_pk_add_f32 v[22:23], v[22:23], v[24:25] neg_lo:[0,1] neg_hi:[0,1]
	v_pk_fma_f32 v[20:21], v[28:29], 0.5, v[20:21] op_sel_hi:[1,0,1] neg_lo:[1,0,0] neg_hi:[1,0,0]
	v_pk_mul_f32 v[22:23], v[22:23], s[2:3] op_sel_hi:[1,0]
	v_pk_add_f32 v[24:25], v[26:27], v[24:25]
	v_pk_add_f32 v[26:27], v[20:21], v[22:23] op_sel:[0,1] op_sel_hi:[1,0] neg_lo:[0,1] neg_hi:[0,1]
	v_pk_add_f32 v[20:21], v[20:21], v[22:23] op_sel:[0,1] op_sel_hi:[1,0]
	v_mov_b32_e32 v22, v26
	v_mov_b32_e32 v23, v21
	;; [unrolled: 1-line block ×3, first 2 shown]
	ds_write2_b64 v39, v[24:25], v[22:23] offset1:1
	ds_write_b64 v39, v[20:21] offset:16
	s_waitcnt lgkmcnt(0)
	s_barrier
	ds_read2_b64 v[20:23], v38 offset1:9
	ds_read_b64 v[24:25], v38 offset:144
	s_waitcnt lgkmcnt(0)
	s_barrier
	v_pk_mul_f32 v[26:27], v[0:1], v[22:23] op_sel:[1,0]
	v_pk_mul_f32 v[16:17], v[16:17], v[24:25] op_sel_hi:[0,1]
	v_pk_fma_f32 v[28:29], v[0:1], v[22:23], v[26:27] op_sel:[0,0,1] op_sel_hi:[1,1,0]
	v_pk_fma_f32 v[0:1], v[0:1], v[22:23], v[26:27] op_sel:[0,0,1] op_sel_hi:[0,1,0] neg_lo:[0,0,1] neg_hi:[0,0,1]
	v_pk_fma_f32 v[22:23], v[2:3], v[24:25], v[16:17] op_sel:[0,0,1] op_sel_hi:[1,1,0]
	v_pk_fma_f32 v[2:3], v[2:3], v[24:25], v[16:17] op_sel:[0,0,1] op_sel_hi:[0,1,0] neg_lo:[0,0,1] neg_hi:[0,0,1]
	v_mov_b32_e32 v29, v1
	v_mov_b32_e32 v23, v3
	v_pk_add_f32 v[0:1], v[28:29], v[22:23]
	v_pk_add_f32 v[2:3], v[28:29], v[22:23] neg_lo:[0,1] neg_hi:[0,1]
	v_pk_fma_f32 v[0:1], v[0:1], 0.5, v[20:21] op_sel_hi:[1,0,1] neg_lo:[1,0,0] neg_hi:[1,0,0]
	v_pk_mul_f32 v[2:3], v[2:3], s[2:3] op_sel_hi:[1,0]
	v_pk_add_f32 v[16:17], v[20:21], v[28:29]
	v_pk_add_f32 v[20:21], v[0:1], v[2:3] op_sel:[0,1] op_sel_hi:[1,0]
	v_pk_add_f32 v[0:1], v[0:1], v[2:3] op_sel:[0,1] op_sel_hi:[1,0] neg_lo:[0,1] neg_hi:[0,1]
	v_pk_add_f32 v[16:17], v[16:17], v[22:23]
	v_mov_b32_e32 v2, v0
	v_mov_b32_e32 v3, v21
	;; [unrolled: 1-line block ×3, first 2 shown]
	ds_write2_b64 v40, v[16:17], v[2:3] offset1:3
	ds_write_b64 v40, v[20:21] offset:48
	s_waitcnt lgkmcnt(0)
	s_barrier
	ds_read2_b64 v[0:3], v38 offset1:9
	ds_read_b64 v[16:17], v38 offset:144
	v_mad_u64_u32 v[20:21], s[6:7], s4, v15, v[30:31]
	v_add_u32_e32 v21, s8, v21
	s_waitcnt lgkmcnt(1)
	v_pk_mul_f32 v[22:23], v[4:5], v[2:3] op_sel:[1,0]
	s_waitcnt lgkmcnt(0)
	v_pk_mul_f32 v[18:19], v[18:19], v[16:17] op_sel_hi:[0,1]
	v_pk_fma_f32 v[24:25], v[4:5], v[2:3], v[22:23] op_sel:[0,0,1] op_sel_hi:[1,1,0]
	v_pk_fma_f32 v[2:3], v[4:5], v[2:3], v[22:23] op_sel:[0,0,1] op_sel_hi:[0,1,0] neg_lo:[0,0,1] neg_hi:[0,0,1]
	v_pk_fma_f32 v[4:5], v[6:7], v[16:17], v[18:19] op_sel:[0,0,1] op_sel_hi:[1,1,0]
	v_pk_fma_f32 v[6:7], v[6:7], v[16:17], v[18:19] op_sel:[0,0,1] op_sel_hi:[0,1,0] neg_lo:[0,0,1] neg_hi:[0,0,1]
	v_mov_b32_e32 v25, v3
	v_mov_b32_e32 v5, v7
	v_pk_add_f32 v[2:3], v[0:1], v[24:25]
	v_pk_add_f32 v[6:7], v[24:25], v[4:5]
	v_pk_add_f32 v[16:17], v[24:25], v[4:5] neg_lo:[0,1] neg_hi:[0,1]
	v_pk_add_f32 v[2:3], v[2:3], v[4:5]
	v_pk_fma_f32 v[0:1], v[6:7], 0.5, v[0:1] op_sel_hi:[1,0,1] neg_lo:[1,0,0] neg_hi:[1,0,0]
	v_pk_mul_f32 v[4:5], v[16:17], s[2:3] op_sel_hi:[1,0]
	s_nop 0
	v_pk_add_f32 v[6:7], v[0:1], v[4:5] op_sel:[0,1] op_sel_hi:[1,0] neg_lo:[0,1] neg_hi:[0,1]
	v_pk_add_f32 v[0:1], v[0:1], v[4:5] op_sel:[0,1] op_sel_hi:[1,0]
	v_mov_b32_e32 v4, v6
	v_mov_b32_e32 v5, v1
	v_mov_b32_e32 v1, v7
	ds_write2_b64 v38, v[2:3], v[4:5] offset1:9
	ds_write_b64 v38, v[0:1] offset:144
	s_waitcnt lgkmcnt(0)
	s_barrier
	ds_read2_b64 v[0:3], v38 offset1:9
	ds_read_b64 v[6:7], v38 offset:144
	v_mad_u64_u32 v[4:5], s[2:3], s4, v15, v[20:21]
	v_add_u32_e32 v5, s8, v5
	s_waitcnt lgkmcnt(1)
	v_mul_f32_e32 v14, v9, v1
	v_mul_f32_e32 v9, v9, v0
	;; [unrolled: 1-line block ×4, first 2 shown]
	s_waitcnt lgkmcnt(0)
	v_mul_f32_e32 v16, v13, v7
	v_mul_f32_e32 v13, v13, v6
	v_fmac_f32_e32 v14, v8, v0
	v_fma_f32 v8, v8, v1, -v9
	v_fmac_f32_e32 v15, v10, v2
	v_fma_f32 v9, v10, v3, -v11
	v_fmac_f32_e32 v16, v12, v6
	v_fma_f32 v12, v12, v7, -v13
	v_cvt_f64_f32_e32 v[0:1], v14
	v_cvt_f64_f32_e32 v[2:3], v8
	;; [unrolled: 1-line block ×6, first 2 shown]
	v_mul_f64 v[0:1], v[0:1], s[0:1]
	v_mul_f64 v[2:3], v[2:3], s[0:1]
	v_mul_f64 v[6:7], v[6:7], s[0:1]
	v_mul_f64 v[8:9], v[8:9], s[0:1]
	v_mul_f64 v[10:11], v[10:11], s[0:1]
	v_mul_f64 v[12:13], v[12:13], s[0:1]
	v_cvt_f32_f64_e32 v0, v[0:1]
	v_cvt_f32_f64_e32 v1, v[2:3]
	;; [unrolled: 1-line block ×6, first 2 shown]
	global_store_dwordx2 v[30:31], v[0:1], off
	global_store_dwordx2 v[20:21], v[2:3], off
	;; [unrolled: 1-line block ×3, first 2 shown]
.LBB0_2:
	s_endpgm
	.section	.rodata,"a",@progbits
	.p2align	6, 0x0
	.amdhsa_kernel bluestein_single_back_len27_dim1_sp_op_CI_CI
		.amdhsa_group_segment_fixed_size 6048
		.amdhsa_private_segment_fixed_size 0
		.amdhsa_kernarg_size 104
		.amdhsa_user_sgpr_count 2
		.amdhsa_user_sgpr_dispatch_ptr 0
		.amdhsa_user_sgpr_queue_ptr 0
		.amdhsa_user_sgpr_kernarg_segment_ptr 1
		.amdhsa_user_sgpr_dispatch_id 0
		.amdhsa_user_sgpr_kernarg_preload_length 0
		.amdhsa_user_sgpr_kernarg_preload_offset 0
		.amdhsa_user_sgpr_private_segment_size 0
		.amdhsa_uses_dynamic_stack 0
		.amdhsa_enable_private_segment 0
		.amdhsa_system_sgpr_workgroup_id_x 1
		.amdhsa_system_sgpr_workgroup_id_y 0
		.amdhsa_system_sgpr_workgroup_id_z 0
		.amdhsa_system_sgpr_workgroup_info 0
		.amdhsa_system_vgpr_workitem_id 0
		.amdhsa_next_free_vgpr 41
		.amdhsa_next_free_sgpr 20
		.amdhsa_accum_offset 44
		.amdhsa_reserve_vcc 1
		.amdhsa_float_round_mode_32 0
		.amdhsa_float_round_mode_16_64 0
		.amdhsa_float_denorm_mode_32 3
		.amdhsa_float_denorm_mode_16_64 3
		.amdhsa_dx10_clamp 1
		.amdhsa_ieee_mode 1
		.amdhsa_fp16_overflow 0
		.amdhsa_tg_split 0
		.amdhsa_exception_fp_ieee_invalid_op 0
		.amdhsa_exception_fp_denorm_src 0
		.amdhsa_exception_fp_ieee_div_zero 0
		.amdhsa_exception_fp_ieee_overflow 0
		.amdhsa_exception_fp_ieee_underflow 0
		.amdhsa_exception_fp_ieee_inexact 0
		.amdhsa_exception_int_div_zero 0
	.end_amdhsa_kernel
	.text
.Lfunc_end0:
	.size	bluestein_single_back_len27_dim1_sp_op_CI_CI, .Lfunc_end0-bluestein_single_back_len27_dim1_sp_op_CI_CI
                                        ; -- End function
	.section	.AMDGPU.csdata,"",@progbits
; Kernel info:
; codeLenInByte = 1992
; NumSgprs: 26
; NumVgprs: 41
; NumAgprs: 0
; TotalNumVgprs: 41
; ScratchSize: 0
; MemoryBound: 0
; FloatMode: 240
; IeeeMode: 1
; LDSByteSize: 6048 bytes/workgroup (compile time only)
; SGPRBlocks: 3
; VGPRBlocks: 5
; NumSGPRsForWavesPerEU: 26
; NumVGPRsForWavesPerEU: 41
; AccumOffset: 44
; Occupancy: 8
; WaveLimiterHint : 1
; COMPUTE_PGM_RSRC2:SCRATCH_EN: 0
; COMPUTE_PGM_RSRC2:USER_SGPR: 2
; COMPUTE_PGM_RSRC2:TRAP_HANDLER: 0
; COMPUTE_PGM_RSRC2:TGID_X_EN: 1
; COMPUTE_PGM_RSRC2:TGID_Y_EN: 0
; COMPUTE_PGM_RSRC2:TGID_Z_EN: 0
; COMPUTE_PGM_RSRC2:TIDIG_COMP_CNT: 0
; COMPUTE_PGM_RSRC3_GFX90A:ACCUM_OFFSET: 10
; COMPUTE_PGM_RSRC3_GFX90A:TG_SPLIT: 0
	.text
	.p2alignl 6, 3212836864
	.fill 256, 4, 3212836864
	.type	__hip_cuid_68846819410176c5,@object ; @__hip_cuid_68846819410176c5
	.section	.bss,"aw",@nobits
	.globl	__hip_cuid_68846819410176c5
__hip_cuid_68846819410176c5:
	.byte	0                               ; 0x0
	.size	__hip_cuid_68846819410176c5, 1

	.ident	"AMD clang version 19.0.0git (https://github.com/RadeonOpenCompute/llvm-project roc-6.4.0 25133 c7fe45cf4b819c5991fe208aaa96edf142730f1d)"
	.section	".note.GNU-stack","",@progbits
	.addrsig
	.addrsig_sym __hip_cuid_68846819410176c5
	.amdgpu_metadata
---
amdhsa.kernels:
  - .agpr_count:     0
    .args:
      - .actual_access:  read_only
        .address_space:  global
        .offset:         0
        .size:           8
        .value_kind:     global_buffer
      - .actual_access:  read_only
        .address_space:  global
        .offset:         8
        .size:           8
        .value_kind:     global_buffer
      - .actual_access:  read_only
        .address_space:  global
        .offset:         16
        .size:           8
        .value_kind:     global_buffer
      - .actual_access:  read_only
        .address_space:  global
        .offset:         24
        .size:           8
        .value_kind:     global_buffer
      - .actual_access:  read_only
        .address_space:  global
        .offset:         32
        .size:           8
        .value_kind:     global_buffer
      - .offset:         40
        .size:           8
        .value_kind:     by_value
      - .address_space:  global
        .offset:         48
        .size:           8
        .value_kind:     global_buffer
      - .address_space:  global
        .offset:         56
        .size:           8
        .value_kind:     global_buffer
      - .address_space:  global
        .offset:         64
        .size:           8
        .value_kind:     global_buffer
      - .address_space:  global
        .offset:         72
        .size:           8
        .value_kind:     global_buffer
      - .offset:         80
        .size:           4
        .value_kind:     by_value
      - .address_space:  global
        .offset:         88
        .size:           8
        .value_kind:     global_buffer
      - .address_space:  global
        .offset:         96
        .size:           8
        .value_kind:     global_buffer
    .group_segment_fixed_size: 6048
    .kernarg_segment_align: 8
    .kernarg_segment_size: 104
    .language:       OpenCL C
    .language_version:
      - 2
      - 0
    .max_flat_workgroup_size: 252
    .name:           bluestein_single_back_len27_dim1_sp_op_CI_CI
    .private_segment_fixed_size: 0
    .sgpr_count:     26
    .sgpr_spill_count: 0
    .symbol:         bluestein_single_back_len27_dim1_sp_op_CI_CI.kd
    .uniform_work_group_size: 1
    .uses_dynamic_stack: false
    .vgpr_count:     41
    .vgpr_spill_count: 0
    .wavefront_size: 64
amdhsa.target:   amdgcn-amd-amdhsa--gfx950
amdhsa.version:
  - 1
  - 2
...

	.end_amdgpu_metadata
